;; amdgpu-corpus repo=ROCm/rocFFT kind=compiled arch=gfx906 opt=O3
	.text
	.amdgcn_target "amdgcn-amd-amdhsa--gfx906"
	.amdhsa_code_object_version 6
	.protected	fft_rtc_back_len384_factors_6_4_4_4_wgs_128_tpt_32_halfLds_sp_ip_CI_unitstride_sbrr_C2R_dirReg ; -- Begin function fft_rtc_back_len384_factors_6_4_4_4_wgs_128_tpt_32_halfLds_sp_ip_CI_unitstride_sbrr_C2R_dirReg
	.globl	fft_rtc_back_len384_factors_6_4_4_4_wgs_128_tpt_32_halfLds_sp_ip_CI_unitstride_sbrr_C2R_dirReg
	.p2align	8
	.type	fft_rtc_back_len384_factors_6_4_4_4_wgs_128_tpt_32_halfLds_sp_ip_CI_unitstride_sbrr_C2R_dirReg,@function
fft_rtc_back_len384_factors_6_4_4_4_wgs_128_tpt_32_halfLds_sp_ip_CI_unitstride_sbrr_C2R_dirReg: ; @fft_rtc_back_len384_factors_6_4_4_4_wgs_128_tpt_32_halfLds_sp_ip_CI_unitstride_sbrr_C2R_dirReg
; %bb.0:
	s_load_dwordx2 s[2:3], s[4:5], 0x50
	s_load_dwordx4 s[8:11], s[4:5], 0x0
	s_load_dwordx2 s[12:13], s[4:5], 0x18
	v_lshrrev_b32_e32 v9, 5, v0
	v_mov_b32_e32 v3, 0
	v_mov_b32_e32 v1, 0
	s_waitcnt lgkmcnt(0)
	v_cmp_lt_u64_e64 s[0:1], s[10:11], 2
	v_lshl_or_b32 v5, s6, 2, v9
	v_mov_b32_e32 v6, v3
	s_and_b64 vcc, exec, s[0:1]
	v_mov_b32_e32 v2, 0
	s_cbranch_vccnz .LBB0_8
; %bb.1:
	s_load_dwordx2 s[0:1], s[4:5], 0x10
	s_add_u32 s6, s12, 8
	s_addc_u32 s7, s13, 0
	v_mov_b32_e32 v1, 0
	v_mov_b32_e32 v2, 0
	s_waitcnt lgkmcnt(0)
	s_add_u32 s14, s0, 8
	s_addc_u32 s15, s1, 0
	s_mov_b64 s[16:17], 1
.LBB0_2:                                ; =>This Inner Loop Header: Depth=1
	s_load_dwordx2 s[18:19], s[14:15], 0x0
                                        ; implicit-def: $vgpr7_vgpr8
	s_waitcnt lgkmcnt(0)
	v_or_b32_e32 v4, s19, v6
	v_cmp_ne_u64_e32 vcc, 0, v[3:4]
	s_and_saveexec_b64 s[0:1], vcc
	s_xor_b64 s[20:21], exec, s[0:1]
	s_cbranch_execz .LBB0_4
; %bb.3:                                ;   in Loop: Header=BB0_2 Depth=1
	v_cvt_f32_u32_e32 v4, s18
	v_cvt_f32_u32_e32 v7, s19
	s_sub_u32 s0, 0, s18
	s_subb_u32 s1, 0, s19
	v_mac_f32_e32 v4, 0x4f800000, v7
	v_rcp_f32_e32 v4, v4
	v_mul_f32_e32 v4, 0x5f7ffffc, v4
	v_mul_f32_e32 v7, 0x2f800000, v4
	v_trunc_f32_e32 v7, v7
	v_mac_f32_e32 v4, 0xcf800000, v7
	v_cvt_u32_f32_e32 v7, v7
	v_cvt_u32_f32_e32 v4, v4
	v_mul_lo_u32 v8, s0, v7
	v_mul_hi_u32 v10, s0, v4
	v_mul_lo_u32 v12, s1, v4
	v_mul_lo_u32 v11, s0, v4
	v_add_u32_e32 v8, v10, v8
	v_add_u32_e32 v8, v8, v12
	v_mul_hi_u32 v10, v4, v11
	v_mul_lo_u32 v12, v4, v8
	v_mul_hi_u32 v14, v4, v8
	v_mul_hi_u32 v13, v7, v11
	v_mul_lo_u32 v11, v7, v11
	v_mul_hi_u32 v15, v7, v8
	v_add_co_u32_e32 v10, vcc, v10, v12
	v_addc_co_u32_e32 v12, vcc, 0, v14, vcc
	v_mul_lo_u32 v8, v7, v8
	v_add_co_u32_e32 v10, vcc, v10, v11
	v_addc_co_u32_e32 v10, vcc, v12, v13, vcc
	v_addc_co_u32_e32 v11, vcc, 0, v15, vcc
	v_add_co_u32_e32 v8, vcc, v10, v8
	v_addc_co_u32_e32 v10, vcc, 0, v11, vcc
	v_add_co_u32_e32 v4, vcc, v4, v8
	v_addc_co_u32_e32 v7, vcc, v7, v10, vcc
	v_mul_lo_u32 v8, s0, v7
	v_mul_hi_u32 v10, s0, v4
	v_mul_lo_u32 v11, s1, v4
	v_mul_lo_u32 v12, s0, v4
	v_add_u32_e32 v8, v10, v8
	v_add_u32_e32 v8, v8, v11
	v_mul_lo_u32 v13, v4, v8
	v_mul_hi_u32 v14, v4, v12
	v_mul_hi_u32 v15, v4, v8
	;; [unrolled: 1-line block ×3, first 2 shown]
	v_mul_lo_u32 v12, v7, v12
	v_mul_hi_u32 v10, v7, v8
	v_add_co_u32_e32 v13, vcc, v14, v13
	v_addc_co_u32_e32 v14, vcc, 0, v15, vcc
	v_mul_lo_u32 v8, v7, v8
	v_add_co_u32_e32 v12, vcc, v13, v12
	v_addc_co_u32_e32 v11, vcc, v14, v11, vcc
	v_addc_co_u32_e32 v10, vcc, 0, v10, vcc
	v_add_co_u32_e32 v8, vcc, v11, v8
	v_addc_co_u32_e32 v10, vcc, 0, v10, vcc
	v_add_co_u32_e32 v4, vcc, v4, v8
	v_addc_co_u32_e32 v10, vcc, v7, v10, vcc
	v_mad_u64_u32 v[7:8], s[0:1], v5, v10, 0
	v_mul_hi_u32 v11, v5, v4
	v_add_co_u32_e32 v12, vcc, v11, v7
	v_addc_co_u32_e32 v13, vcc, 0, v8, vcc
	v_mad_u64_u32 v[7:8], s[0:1], v6, v4, 0
	v_mad_u64_u32 v[10:11], s[0:1], v6, v10, 0
	v_add_co_u32_e32 v4, vcc, v12, v7
	v_addc_co_u32_e32 v4, vcc, v13, v8, vcc
	v_addc_co_u32_e32 v7, vcc, 0, v11, vcc
	v_add_co_u32_e32 v4, vcc, v4, v10
	v_addc_co_u32_e32 v10, vcc, 0, v7, vcc
	v_mul_lo_u32 v11, s19, v4
	v_mul_lo_u32 v12, s18, v10
	v_mad_u64_u32 v[7:8], s[0:1], s18, v4, 0
	v_add3_u32 v8, v8, v12, v11
	v_sub_u32_e32 v11, v6, v8
	v_mov_b32_e32 v12, s19
	v_sub_co_u32_e32 v7, vcc, v5, v7
	v_subb_co_u32_e64 v11, s[0:1], v11, v12, vcc
	v_subrev_co_u32_e64 v12, s[0:1], s18, v7
	v_subbrev_co_u32_e64 v11, s[0:1], 0, v11, s[0:1]
	v_cmp_le_u32_e64 s[0:1], s19, v11
	v_cndmask_b32_e64 v13, 0, -1, s[0:1]
	v_cmp_le_u32_e64 s[0:1], s18, v12
	v_cndmask_b32_e64 v12, 0, -1, s[0:1]
	v_cmp_eq_u32_e64 s[0:1], s19, v11
	v_cndmask_b32_e64 v11, v13, v12, s[0:1]
	v_add_co_u32_e64 v12, s[0:1], 2, v4
	v_addc_co_u32_e64 v13, s[0:1], 0, v10, s[0:1]
	v_add_co_u32_e64 v14, s[0:1], 1, v4
	v_addc_co_u32_e64 v15, s[0:1], 0, v10, s[0:1]
	v_subb_co_u32_e32 v8, vcc, v6, v8, vcc
	v_cmp_ne_u32_e64 s[0:1], 0, v11
	v_cmp_le_u32_e32 vcc, s19, v8
	v_cndmask_b32_e64 v11, v15, v13, s[0:1]
	v_cndmask_b32_e64 v13, 0, -1, vcc
	v_cmp_le_u32_e32 vcc, s18, v7
	v_cndmask_b32_e64 v7, 0, -1, vcc
	v_cmp_eq_u32_e32 vcc, s19, v8
	v_cndmask_b32_e32 v7, v13, v7, vcc
	v_cmp_ne_u32_e32 vcc, 0, v7
	v_cndmask_b32_e64 v7, v14, v12, s[0:1]
	v_cndmask_b32_e32 v8, v10, v11, vcc
	v_cndmask_b32_e32 v7, v4, v7, vcc
.LBB0_4:                                ;   in Loop: Header=BB0_2 Depth=1
	s_andn2_saveexec_b64 s[0:1], s[20:21]
	s_cbranch_execz .LBB0_6
; %bb.5:                                ;   in Loop: Header=BB0_2 Depth=1
	v_cvt_f32_u32_e32 v4, s18
	s_sub_i32 s20, 0, s18
	v_rcp_iflag_f32_e32 v4, v4
	v_mul_f32_e32 v4, 0x4f7ffffe, v4
	v_cvt_u32_f32_e32 v4, v4
	v_mul_lo_u32 v7, s20, v4
	v_mul_hi_u32 v7, v4, v7
	v_add_u32_e32 v4, v4, v7
	v_mul_hi_u32 v4, v5, v4
	v_mul_lo_u32 v7, v4, s18
	v_add_u32_e32 v8, 1, v4
	v_sub_u32_e32 v7, v5, v7
	v_subrev_u32_e32 v10, s18, v7
	v_cmp_le_u32_e32 vcc, s18, v7
	v_cndmask_b32_e32 v7, v7, v10, vcc
	v_cndmask_b32_e32 v4, v4, v8, vcc
	v_add_u32_e32 v8, 1, v4
	v_cmp_le_u32_e32 vcc, s18, v7
	v_cndmask_b32_e32 v7, v4, v8, vcc
	v_mov_b32_e32 v8, v3
.LBB0_6:                                ;   in Loop: Header=BB0_2 Depth=1
	s_or_b64 exec, exec, s[0:1]
	v_mul_lo_u32 v4, v8, s18
	v_mul_lo_u32 v12, v7, s19
	v_mad_u64_u32 v[10:11], s[0:1], v7, s18, 0
	s_load_dwordx2 s[0:1], s[6:7], 0x0
	s_add_u32 s16, s16, 1
	v_add3_u32 v4, v11, v12, v4
	v_sub_co_u32_e32 v5, vcc, v5, v10
	v_subb_co_u32_e32 v4, vcc, v6, v4, vcc
	s_waitcnt lgkmcnt(0)
	v_mul_lo_u32 v4, s0, v4
	v_mul_lo_u32 v6, s1, v5
	v_mad_u64_u32 v[1:2], s[0:1], s0, v5, v[1:2]
	s_addc_u32 s17, s17, 0
	s_add_u32 s6, s6, 8
	v_add3_u32 v2, v6, v2, v4
	v_mov_b32_e32 v4, s10
	v_mov_b32_e32 v5, s11
	s_addc_u32 s7, s7, 0
	v_cmp_ge_u64_e32 vcc, s[16:17], v[4:5]
	s_add_u32 s14, s14, 8
	s_addc_u32 s15, s15, 0
	s_cbranch_vccnz .LBB0_9
; %bb.7:                                ;   in Loop: Header=BB0_2 Depth=1
	v_mov_b32_e32 v5, v7
	v_mov_b32_e32 v6, v8
	s_branch .LBB0_2
.LBB0_8:
	v_mov_b32_e32 v8, v6
	v_mov_b32_e32 v7, v5
.LBB0_9:
	s_lshl_b64 s[0:1], s[10:11], 3
	s_add_u32 s0, s12, s0
	s_addc_u32 s1, s13, s1
	s_load_dwordx2 s[6:7], s[0:1], 0x0
	s_load_dwordx2 s[10:11], s[4:5], 0x20
	v_and_b32_e32 v0, 31, v0
	s_waitcnt lgkmcnt(0)
	v_mul_lo_u32 v4, s6, v8
	v_mul_lo_u32 v5, s7, v7
	v_mad_u64_u32 v[2:3], s[0:1], s6, v7, v[1:2]
	v_mul_u32_u24_e32 v1, 0x181, v9
	v_cmp_gt_u64_e32 vcc, s[10:11], v[7:8]
	v_add3_u32 v3, v5, v3, v4
	v_lshlrev_b64 v[2:3], 3, v[2:3]
	v_lshlrev_b32_e32 v10, 3, v1
	s_and_saveexec_b64 s[4:5], vcc
	s_cbranch_execz .LBB0_13
; %bb.10:
	v_mov_b32_e32 v5, s3
	v_add_co_u32_e64 v4, s[0:1], s2, v2
	v_addc_co_u32_e64 v5, s[0:1], v5, v3, s[0:1]
	v_lshlrev_b32_e32 v33, 3, v0
	v_add_co_u32_e64 v6, s[0:1], v4, v33
	v_addc_co_u32_e64 v7, s[0:1], 0, v5, s[0:1]
	global_load_dwordx2 v[8:9], v[6:7], off
	global_load_dwordx2 v[11:12], v[6:7], off offset:256
	global_load_dwordx2 v[13:14], v[6:7], off offset:512
	;; [unrolled: 1-line block ×11, first 2 shown]
	v_add3_u32 v6, 0, v10, v33
	v_cmp_eq_u32_e64 s[0:1], 31, v0
	v_add_u32_e32 v7, 0x800, v6
	s_waitcnt vmcnt(10)
	ds_write2_b64 v6, v[8:9], v[11:12] offset1:32
	s_waitcnt vmcnt(8)
	ds_write2_b64 v6, v[13:14], v[15:16] offset0:64 offset1:96
	s_waitcnt vmcnt(6)
	ds_write2_b64 v6, v[17:18], v[19:20] offset0:128 offset1:160
	;; [unrolled: 2-line block ×3, first 2 shown]
	s_waitcnt vmcnt(2)
	ds_write2_b64 v7, v[25:26], v[27:28] offset1:32
	s_waitcnt vmcnt(0)
	ds_write2_b64 v7, v[29:30], v[31:32] offset0:64 offset1:96
	s_and_saveexec_b64 s[6:7], s[0:1]
	s_cbranch_execz .LBB0_12
; %bb.11:
	global_load_dwordx2 v[4:5], v[4:5], off offset:3072
	v_mov_b32_e32 v0, 31
	s_waitcnt vmcnt(0)
	ds_write_b64 v6, v[4:5] offset:2824
.LBB0_12:
	s_or_b64 exec, exec, s[6:7]
.LBB0_13:
	s_or_b64 exec, exec, s[4:5]
	v_lshl_add_u32 v8, v1, 3, 0
	v_lshlrev_b32_e32 v12, 3, v0
	v_add_u32_e32 v9, v8, v12
	s_waitcnt lgkmcnt(0)
	s_barrier
	v_sub_u32_e32 v11, v8, v12
	ds_read_b32 v13, v9
	ds_read_b32 v14, v11 offset:3072
	v_cmp_ne_u32_e64 s[0:1], 0, v0
                                        ; implicit-def: $vgpr6_vgpr7
	s_waitcnt lgkmcnt(0)
	v_add_f32_e32 v4, v14, v13
	v_sub_f32_e32 v5, v13, v14
	s_and_saveexec_b64 s[4:5], s[0:1]
	s_xor_b64 s[0:1], exec, s[4:5]
	s_cbranch_execz .LBB0_15
; %bb.14:
	global_load_dwordx2 v[6:7], v12, s[8:9] offset:3024
	ds_read_b32 v4, v11 offset:3076
	ds_read_b32 v5, v9 offset:4
	v_add_f32_e32 v15, v14, v13
	v_sub_f32_e32 v16, v13, v14
	v_mov_b32_e32 v1, 0
	s_waitcnt lgkmcnt(0)
	v_add_f32_e32 v17, v4, v5
	v_sub_f32_e32 v4, v5, v4
	s_waitcnt vmcnt(0)
	v_fma_f32 v18, v16, v7, v15
	v_fma_f32 v5, v17, v7, v4
	v_fma_f32 v13, -v16, v7, v15
	v_fma_f32 v14, v17, v7, -v4
	v_fma_f32 v4, -v6, v17, v18
	v_fmac_f32_e32 v5, v16, v6
	v_fmac_f32_e32 v13, v6, v17
	;; [unrolled: 1-line block ×3, first 2 shown]
	v_mov_b32_e32 v7, v1
	ds_write_b64 v11, v[13:14] offset:3072
	v_mov_b32_e32 v6, v0
.LBB0_15:
	s_andn2_saveexec_b64 s[0:1], s[0:1]
	s_cbranch_execz .LBB0_17
; %bb.16:
	ds_read_b64 v[6:7], v8 offset:1536
	s_waitcnt lgkmcnt(0)
	v_add_f32_e32 v13, v6, v6
	v_mul_f32_e32 v14, -2.0, v7
	v_mov_b32_e32 v6, 0
	v_mov_b32_e32 v7, 0
	ds_write_b64 v8, v[13:14] offset:1536
.LBB0_17:
	s_or_b64 exec, exec, s[0:1]
	s_add_u32 s0, s8, 0xbd0
	v_lshlrev_b64 v[6:7], 3, v[6:7]
	s_addc_u32 s1, s9, 0
	v_mov_b32_e32 v1, s1
	v_add_co_u32_e64 v6, s[0:1], s0, v6
	v_addc_co_u32_e64 v7, s[0:1], v1, v7, s[0:1]
	global_load_dwordx2 v[13:14], v[6:7], off offset:256
	global_load_dwordx2 v[15:16], v[6:7], off offset:512
	global_load_dwordx2 v[17:18], v[6:7], off offset:768
	global_load_dwordx2 v[19:20], v[6:7], off offset:1024
	ds_write_b64 v9, v[4:5]
	ds_read_b64 v[4:5], v9 offset:256
	ds_read_b64 v[21:22], v11 offset:2816
	global_load_dwordx2 v[23:24], v[6:7], off offset:1280
	s_movk_i32 s0, 0xffd8
	s_waitcnt lgkmcnt(0)
	v_add_f32_e32 v1, v4, v21
	v_add_f32_e32 v25, v22, v5
	v_sub_f32_e32 v21, v4, v21
	v_sub_f32_e32 v4, v5, v22
	s_waitcnt vmcnt(4)
	v_fma_f32 v22, v21, v14, v1
	v_fma_f32 v5, v25, v14, v4
	v_fma_f32 v6, -v21, v14, v1
	v_fma_f32 v7, v25, v14, -v4
	v_fma_f32 v4, -v13, v25, v22
	v_fmac_f32_e32 v5, v21, v13
	v_fmac_f32_e32 v6, v13, v25
	v_fmac_f32_e32 v7, v21, v13
	ds_write_b64 v9, v[4:5] offset:256
	ds_write_b64 v11, v[6:7] offset:2816
	ds_read_b64 v[4:5], v9 offset:512
	ds_read_b64 v[6:7], v11 offset:2560
	s_waitcnt lgkmcnt(0)
	v_add_f32_e32 v1, v4, v6
	v_add_f32_e32 v13, v7, v5
	v_sub_f32_e32 v14, v4, v6
	v_sub_f32_e32 v4, v5, v7
	s_waitcnt vmcnt(3)
	v_fma_f32 v21, v14, v16, v1
	v_fma_f32 v5, v13, v16, v4
	v_fma_f32 v6, -v14, v16, v1
	v_fma_f32 v7, v13, v16, -v4
	v_fma_f32 v4, -v15, v13, v21
	v_fmac_f32_e32 v5, v14, v15
	v_fmac_f32_e32 v6, v15, v13
	v_fmac_f32_e32 v7, v14, v15
	ds_write_b64 v9, v[4:5] offset:512
	ds_write_b64 v11, v[6:7] offset:2560
	ds_read_b64 v[4:5], v9 offset:768
	ds_read_b64 v[6:7], v11 offset:2304
	s_waitcnt lgkmcnt(0)
	v_add_f32_e32 v1, v4, v6
	v_add_f32_e32 v13, v7, v5
	v_sub_f32_e32 v14, v4, v6
	v_sub_f32_e32 v4, v5, v7
	s_waitcnt vmcnt(2)
	v_fma_f32 v15, v14, v18, v1
	v_fma_f32 v5, v13, v18, v4
	v_fma_f32 v6, -v14, v18, v1
	v_fma_f32 v7, v13, v18, -v4
	v_fma_f32 v4, -v17, v13, v15
	v_fmac_f32_e32 v5, v14, v17
	v_fmac_f32_e32 v6, v17, v13
	v_fmac_f32_e32 v7, v14, v17
	ds_write_b64 v9, v[4:5] offset:768
	ds_write_b64 v11, v[6:7] offset:2304
	ds_read_b64 v[4:5], v9 offset:1024
	ds_read_b64 v[6:7], v11 offset:2048
	s_waitcnt lgkmcnt(0)
	v_add_f32_e32 v1, v4, v6
	v_add_f32_e32 v13, v7, v5
	v_sub_f32_e32 v14, v4, v6
	v_sub_f32_e32 v4, v5, v7
	s_waitcnt vmcnt(1)
	v_fma_f32 v15, v14, v20, v1
	v_fma_f32 v5, v13, v20, v4
	v_fma_f32 v6, -v14, v20, v1
	v_fma_f32 v7, v13, v20, -v4
	v_fma_f32 v4, -v19, v13, v15
	v_fmac_f32_e32 v5, v14, v19
	v_fmac_f32_e32 v6, v19, v13
	v_fmac_f32_e32 v7, v14, v19
	ds_write_b64 v9, v[4:5] offset:1024
	ds_write_b64 v11, v[6:7] offset:2048
	ds_read_b64 v[4:5], v9 offset:1280
	ds_read_b64 v[13:14], v11 offset:1792
	v_add3_u32 v1, 0, v12, v10
	v_add_u32_e32 v7, 0x800, v1
	v_add_u32_e32 v6, 0x400, v1
	v_mad_u32_u24 v43, v0, 40, v1
	s_waitcnt lgkmcnt(0)
	v_add_f32_e32 v12, v4, v13
	v_add_f32_e32 v15, v14, v5
	v_sub_f32_e32 v16, v4, v13
	v_sub_f32_e32 v4, v5, v14
	s_waitcnt vmcnt(0)
	v_fma_f32 v14, v16, v24, v12
	v_fma_f32 v5, v15, v24, v4
	v_fma_f32 v12, -v16, v24, v12
	v_fma_f32 v13, v15, v24, -v4
	v_fma_f32 v4, -v23, v15, v14
	v_fmac_f32_e32 v5, v16, v23
	v_fmac_f32_e32 v12, v23, v15
	;; [unrolled: 1-line block ×3, first 2 shown]
	ds_write_b64 v9, v[4:5] offset:1280
	ds_write_b64 v11, v[12:13] offset:1792
	s_waitcnt lgkmcnt(0)
	s_barrier
	s_barrier
	ds_read2_b64 v[11:14], v1 offset0:32 offset1:64
	ds_read2_b64 v[15:18], v1 offset0:160 offset1:192
	;; [unrolled: 1-line block ×5, first 2 shown]
	ds_read_b64 v[4:5], v9
	ds_read_b64 v[31:32], v1 offset:2816
	s_waitcnt lgkmcnt(4)
	v_sub_f32_e32 v35, v18, v22
	v_add_f32_e32 v36, v14, v18
	v_add_f32_e32 v18, v18, v22
	;; [unrolled: 1-line block ×5, first 2 shown]
	v_fma_f32 v18, -0.5, v18, v14
	v_sub_f32_e32 v17, v17, v21
	v_add_f32_e32 v38, v15, v19
	v_sub_f32_e32 v42, v15, v19
	v_add_f32_e32 v21, v33, v21
	v_add_f32_e32 v33, v37, v19
	v_fma_f32 v19, -0.5, v34, v13
	v_mov_b32_e32 v14, v18
	v_add_f32_e32 v40, v12, v16
	v_mov_b32_e32 v13, v19
	v_fmac_f32_e32 v14, 0x3f5db3d7, v17
	v_sub_f32_e32 v39, v16, v20
	v_add_f32_e32 v41, v16, v20
	v_add_f32_e32 v22, v36, v22
	v_add_f32_e32 v36, v40, v20
	v_fmac_f32_e32 v13, 0xbf5db3d7, v35
	v_mul_f32_e32 v20, 0xbf5db3d7, v14
	v_mul_f32_e32 v34, 0.5, v14
	v_fmac_f32_e32 v20, 0.5, v13
	v_fmac_f32_e32 v34, 0x3f5db3d7, v13
	s_waitcnt lgkmcnt(1)
	v_add_f32_e32 v13, v4, v25
	v_add_f32_e32 v16, v26, v30
	;; [unrolled: 1-line block ×5, first 2 shown]
	v_fmac_f32_e32 v5, -0.5, v16
	v_fma_f32 v4, -0.5, v13, v4
	v_sub_f32_e32 v26, v26, v30
	v_mov_b32_e32 v40, v4
	v_sub_f32_e32 v25, v25, v29
	v_mov_b32_e32 v29, v5
	v_fmac_f32_e32 v40, 0xbf5db3d7, v26
	v_add_f32_e32 v30, v15, v30
	v_fmac_f32_e32 v29, 0x3f5db3d7, v25
	v_add_f32_e32 v13, v37, v21
	v_add_f32_e32 v14, v30, v22
	;; [unrolled: 1-line block ×4, first 2 shown]
	s_waitcnt lgkmcnt(0)
	s_barrier
	ds_write2_b64 v43, v[13:14], v[15:16] offset1:1
	v_add_f32_e32 v15, v28, v32
	v_add_f32_e32 v14, v23, v27
	;; [unrolled: 1-line block ×4, first 2 shown]
	v_sub_f32_e32 v27, v27, v31
	v_fmac_f32_e32 v24, -0.5, v15
	v_sub_f32_e32 v44, v28, v32
	v_fma_f32 v23, -0.5, v13, v23
	v_mov_b32_e32 v28, v24
	v_fmac_f32_e32 v24, 0xbf5db3d7, v27
	v_mul_f32_e32 v15, -0.5, v24
	v_fmac_f32_e32 v12, -0.5, v41
	v_mov_b32_e32 v41, v23
	v_fmac_f32_e32 v23, 0x3f5db3d7, v44
	v_fma_f32 v11, -0.5, v38, v11
	v_mov_b32_e32 v38, v12
	v_fmac_f32_e32 v12, 0xbf5db3d7, v42
	v_fmac_f32_e32 v15, 0x3f5db3d7, v23
	;; [unrolled: 1-line block ×3, first 2 shown]
	v_mul_f32_e32 v46, 0xbf5db3d7, v24
	v_add_f32_e32 v13, v12, v15
	v_sub_f32_e32 v15, v12, v15
	v_fmac_f32_e32 v19, 0x3f5db3d7, v35
	v_mul_f32_e32 v12, 0xbf5db3d7, v18
	v_mul_f32_e32 v16, -0.5, v18
	v_fmac_f32_e32 v4, 0x3f5db3d7, v26
	v_fmac_f32_e32 v5, 0xbf5db3d7, v25
	v_fmac_f32_e32 v12, -0.5, v19
	v_fmac_f32_e32 v16, 0x3f5db3d7, v19
	v_sub_f32_e32 v18, v37, v21
	v_sub_f32_e32 v21, v29, v34
	v_fmac_f32_e32 v46, -0.5, v23
	v_mov_b32_e32 v29, v11
	v_fmac_f32_e32 v11, 0x3f5db3d7, v39
	v_fmac_f32_e32 v28, 0x3f5db3d7, v27
	v_add_f32_e32 v17, v5, v16
	v_sub_f32_e32 v5, v5, v16
	v_add_f32_e32 v16, v4, v12
	v_sub_f32_e32 v4, v4, v12
	v_sub_f32_e32 v19, v30, v22
	v_add_f32_e32 v24, v14, v31
	v_add_f32_e32 v12, v11, v46
	v_sub_f32_e32 v14, v11, v46
	v_fmac_f32_e32 v41, 0xbf5db3d7, v44
	v_mul_f32_e32 v11, 0xbf5db3d7, v28
	v_mul_f32_e32 v30, 0.5, v28
	v_fmac_f32_e32 v29, 0xbf5db3d7, v39
	v_fmac_f32_e32 v38, 0x3f5db3d7, v42
	v_fmac_f32_e32 v11, 0.5, v41
	v_fmac_f32_e32 v30, 0x3f5db3d7, v41
	v_add_f32_e32 v25, v45, v32
	v_add_f32_e32 v27, v38, v30
	v_sub_f32_e32 v28, v29, v11
	v_sub_f32_e32 v20, v40, v20
	v_add_f32_e32 v22, v33, v24
	v_add_f32_e32 v23, v36, v25
	v_sub_f32_e32 v24, v33, v24
	v_sub_f32_e32 v25, v36, v25
	v_add_f32_e32 v26, v29, v11
	v_sub_f32_e32 v29, v38, v30
	ds_write2_b64 v43, v[16:17], v[18:19] offset0:2 offset1:3
	ds_write2_b64 v43, v[20:21], v[4:5] offset0:4 offset1:5
	;; [unrolled: 1-line block ×5, first 2 shown]
	v_mul_lo_u16_e32 v27, 43, v0
	v_mov_b32_e32 v28, 6
	v_mul_lo_u16_sdwa v4, v27, v28 dst_sel:DWORD dst_unused:UNUSED_PAD src0_sel:BYTE_1 src1_sel:DWORD
	v_sub_u16_e32 v29, v0, v4
	v_mul_lo_u16_e32 v4, 3, v29
	v_mov_b32_e32 v30, 3
	v_lshlrev_b32_sdwa v4, v30, v4 dst_sel:DWORD dst_unused:UNUSED_PAD src0_sel:DWORD src1_sel:BYTE_0
	s_waitcnt lgkmcnt(0)
	s_barrier
	global_load_dwordx4 v[11:14], v4, s[8:9]
	v_or_b32_e32 v31, 32, v0
	v_mul_lo_u16_e32 v32, 43, v31
	v_mul_lo_u16_sdwa v5, v32, v28 dst_sel:DWORD dst_unused:UNUSED_PAD src0_sel:BYTE_1 src1_sel:DWORD
	v_sub_u16_e32 v33, v31, v5
	v_mul_u32_u24_sdwa v5, v33, v30 dst_sel:DWORD dst_unused:UNUSED_PAD src0_sel:BYTE_0 src1_sel:DWORD
	v_lshlrev_b32_e32 v34, 3, v5
	global_load_dwordx4 v[15:18], v34, s[8:9]
	ds_read2_b64 v[19:22], v1 offset0:96 offset1:128
	ds_read2_b64 v[23:26], v1 offset0:160 offset1:192
	v_or_b32_e32 v41, 64, v0
	v_mul_lo_u16_e32 v42, 43, v41
	global_load_dwordx2 v[4:5], v4, s[8:9] offset:16
	s_waitcnt vmcnt(2) lgkmcnt(1)
	v_mul_f32_e32 v35, v12, v20
	v_mul_f32_e32 v12, v12, v19
	v_fmac_f32_e32 v35, v11, v19
	v_fma_f32 v36, v11, v20, -v12
	global_load_dwordx2 v[19:20], v34, s[8:9] offset:16
	s_waitcnt lgkmcnt(0)
	v_mul_f32_e32 v37, v14, v26
	v_mul_f32_e32 v11, v14, v25
	v_fmac_f32_e32 v37, v13, v25
	v_fma_f32 v25, v13, v26, -v11
	ds_read2_b64 v[11:14], v6 offset0:96 offset1:128
	s_waitcnt vmcnt(2)
	v_mul_f32_e32 v34, v16, v22
	v_mul_f32_e32 v16, v16, v21
	v_fmac_f32_e32 v34, v15, v21
	v_fma_f32 v38, v15, v22, -v16
	s_waitcnt lgkmcnt(0)
	v_mul_f32_e32 v39, v12, v18
	v_fmac_f32_e32 v39, v11, v17
	v_mul_f32_e32 v11, v11, v18
	v_fma_f32 v40, v12, v17, -v11
	v_mul_lo_u16_sdwa v11, v42, v28 dst_sel:DWORD dst_unused:UNUSED_PAD src0_sel:BYTE_1 src1_sel:DWORD
	v_sub_u16_e32 v28, v41, v11
	v_mul_u32_u24_sdwa v11, v28, v30 dst_sel:DWORD dst_unused:UNUSED_PAD src0_sel:BYTE_0 src1_sel:DWORD
	v_lshlrev_b32_e32 v11, 3, v11
	global_load_dwordx4 v[15:18], v11, s[8:9]
	global_load_dwordx2 v[21:22], v11, s[8:9] offset:16
	s_waitcnt vmcnt(1)
	v_mul_f32_e32 v11, v23, v16
	v_fma_f32 v45, v24, v15, -v11
	v_mul_f32_e32 v46, v14, v18
	v_mul_f32_e32 v11, v13, v18
	v_fmac_f32_e32 v46, v13, v17
	v_fma_f32 v47, v14, v17, -v11
	ds_read2_b64 v[11:14], v7 offset0:32 offset1:64
	v_mul_f32_e32 v44, v24, v16
	v_fmac_f32_e32 v44, v23, v15
	ds_read_b64 v[16:17], v1 offset:2816
	s_waitcnt lgkmcnt(1)
	v_mul_f32_e32 v15, v5, v12
	v_mul_f32_e32 v5, v5, v11
	v_fmac_f32_e32 v15, v4, v11
	v_fma_f32 v11, v4, v12, -v5
	ds_read_b64 v[4:5], v9
	v_mul_f32_e32 v12, v13, v20
	v_mul_f32_e32 v48, v14, v20
	v_fma_f32 v20, v14, v19, -v12
	v_sub_f32_e32 v15, v35, v15
	s_waitcnt lgkmcnt(0)
	v_sub_f32_e32 v12, v4, v37
	v_fmac_f32_e32 v48, v13, v19
	v_sub_f32_e32 v13, v5, v25
	v_fma_f32 v14, v4, 2.0, -v12
	v_sub_f32_e32 v11, v36, v11
	v_fma_f32 v4, v35, 2.0, -v15
	v_mov_b32_e32 v35, 24
	v_fma_f32 v19, v5, 2.0, -v13
	v_fma_f32 v5, v36, 2.0, -v11
	v_add_f32_e32 v23, v12, v11
	v_mul_lo_u16_sdwa v11, v27, v35 dst_sel:DWORD dst_unused:UNUSED_PAD src0_sel:BYTE_1 src1_sel:DWORD
	v_sub_f32_e32 v4, v14, v4
	v_sub_f32_e32 v24, v13, v15
	v_or_b32_e32 v27, v11, v29
	v_mad_i32_i24 v11, v0, s0, v43
	v_fma_f32 v18, v14, 2.0, -v4
	v_fma_f32 v25, v12, 2.0, -v23
	;; [unrolled: 1-line block ×3, first 2 shown]
	ds_read2_b64 v[12:15], v11 offset0:32 offset1:64
	v_sub_f32_e32 v5, v19, v5
	v_lshlrev_b32_sdwa v27, v30, v27 dst_sel:DWORD dst_unused:UNUSED_PAD src0_sel:DWORD src1_sel:BYTE_0
	v_fma_f32 v19, v19, 2.0, -v5
	v_add3_u32 v27, 0, v27, v10
	s_waitcnt vmcnt(0) lgkmcnt(0)
	s_barrier
	ds_write2_b64 v27, v[18:19], v[25:26] offset1:6
	ds_write2_b64 v27, v[4:5], v[23:24] offset0:12 offset1:18
	v_mul_f32_e32 v23, v17, v22
	v_mul_f32_e32 v4, v16, v22
	v_fmac_f32_e32 v23, v16, v21
	v_fma_f32 v21, v17, v21, -v4
	v_sub_f32_e32 v18, v12, v39
	v_sub_f32_e32 v19, v13, v40
	;; [unrolled: 1-line block ×4, first 2 shown]
	v_mul_u32_u24_sdwa v20, v32, v35 dst_sel:DWORD dst_unused:UNUSED_PAD src0_sel:BYTE_1 src1_sel:DWORD
	v_fma_f32 v4, v34, 2.0, -v17
	v_fma_f32 v5, v38, 2.0, -v16
	;; [unrolled: 1-line block ×4, first 2 shown]
	v_or_b32_sdwa v20, v20, v33 dst_sel:DWORD dst_unused:UNUSED_PAD src0_sel:DWORD src1_sel:BYTE_0
	v_sub_f32_e32 v4, v12, v4
	v_sub_f32_e32 v5, v13, v5
	v_add_f32_e32 v16, v18, v16
	v_sub_f32_e32 v17, v19, v17
	v_lshlrev_b32_e32 v20, 3, v20
	v_fma_f32 v12, v12, 2.0, -v4
	v_fma_f32 v13, v13, 2.0, -v5
	;; [unrolled: 1-line block ×4, first 2 shown]
	v_add3_u32 v22, 0, v20, v10
	ds_write2_b64 v22, v[12:13], v[18:19] offset1:6
	v_sub_f32_e32 v20, v14, v46
	v_sub_f32_e32 v24, v15, v47
	;; [unrolled: 1-line block ×4, first 2 shown]
	ds_write2_b64 v22, v[4:5], v[16:17] offset0:12 offset1:18
	v_mul_u32_u24_sdwa v4, v42, v35 dst_sel:DWORD dst_unused:UNUSED_PAD src0_sel:BYTE_1 src1_sel:DWORD
	v_fma_f32 v14, v14, 2.0, -v20
	v_fma_f32 v15, v15, 2.0, -v24
	;; [unrolled: 1-line block ×4, first 2 shown]
	v_or_b32_sdwa v4, v4, v28 dst_sel:DWORD dst_unused:UNUSED_PAD src0_sel:DWORD src1_sel:BYTE_0
	v_sub_f32_e32 v12, v14, v12
	v_sub_f32_e32 v13, v15, v13
	v_add_f32_e32 v18, v20, v18
	v_sub_f32_e32 v19, v24, v19
	v_lshlrev_b32_e32 v4, 3, v4
	v_fma_f32 v14, v14, 2.0, -v12
	v_fma_f32 v15, v15, 2.0, -v13
	;; [unrolled: 1-line block ×4, first 2 shown]
	v_add3_u32 v4, 0, v4, v10
	ds_write2_b64 v4, v[14:15], v[20:21] offset1:6
	ds_write2_b64 v4, v[12:13], v[18:19] offset0:12 offset1:18
	v_subrev_u32_e32 v4, 24, v0
	v_cmp_gt_u32_e64 s[0:1], 24, v0
	v_cndmask_b32_e64 v36, v4, v0, s[0:1]
	v_mul_i32_i24_e32 v4, 3, v36
	v_mov_b32_e32 v5, 0
	v_lshlrev_b64 v[12:13], 3, v[4:5]
	v_mov_b32_e32 v4, s9
	v_add_co_u32_e64 v24, s[0:1], s8, v12
	v_addc_co_u32_e64 v25, s[0:1], v4, v13, s[0:1]
	v_lshrrev_b16_e32 v4, 10, v32
	v_mul_lo_u16_e32 v16, 24, v4
	v_sub_u16_e32 v37, v31, v16
	s_waitcnt lgkmcnt(0)
	s_barrier
	global_load_dwordx4 v[12:15], v[24:25], off offset:144
	v_mul_u32_u24_sdwa v16, v37, v30 dst_sel:DWORD dst_unused:UNUSED_PAD src0_sel:BYTE_0 src1_sel:DWORD
	v_lshlrev_b32_e32 v26, 3, v16
	global_load_dwordx4 v[16:19], v26, s[8:9] offset:144
	v_lshrrev_b16_e32 v38, 10, v42
	v_mul_lo_u16_e32 v20, 24, v38
	v_sub_u16_e32 v39, v41, v20
	v_mul_u32_u24_sdwa v20, v39, v30 dst_sel:DWORD dst_unused:UNUSED_PAD src0_sel:BYTE_0 src1_sel:DWORD
	v_lshlrev_b32_e32 v40, 3, v20
	global_load_dwordx4 v[20:23], v40, s[8:9] offset:144
	global_load_dwordx2 v[32:33], v[24:25], off offset:160
	global_load_dwordx2 v[34:35], v26, s[8:9] offset:160
	ds_read2_b64 v[24:27], v1 offset0:96 offset1:128
	ds_read2_b64 v[28:31], v1 offset0:160 offset1:192
	v_cmp_lt_u32_e64 s[0:1], 23, v0
	v_mul_u32_u24_e32 v4, 0x60, v4
	v_or_b32_sdwa v4, v4, v37 dst_sel:DWORD dst_unused:UNUSED_PAD src0_sel:DWORD src1_sel:BYTE_0
	v_lshlrev_b32_e32 v4, 3, v4
	v_add3_u32 v4, 0, v4, v10
	s_waitcnt vmcnt(4) lgkmcnt(1)
	v_mul_f32_e32 v41, v13, v25
	v_mul_f32_e32 v13, v13, v24
	v_fmac_f32_e32 v41, v12, v24
	v_fma_f32 v24, v12, v25, -v13
	s_waitcnt lgkmcnt(0)
	v_mul_f32_e32 v25, v15, v31
	v_mul_f32_e32 v12, v15, v30
	v_fmac_f32_e32 v25, v14, v30
	v_fma_f32 v30, v14, v31, -v12
	s_waitcnt vmcnt(3)
	v_mul_f32_e32 v31, v17, v27
	v_mul_f32_e32 v12, v17, v26
	v_fmac_f32_e32 v31, v16, v26
	v_fma_f32 v42, v16, v27, -v12
	global_load_dwordx2 v[16:17], v40, s[8:9] offset:160
	ds_read2_b64 v[12:15], v6 offset0:96 offset1:128
	s_waitcnt vmcnt(3)
	v_mul_f32_e32 v40, v29, v21
	v_fmac_f32_e32 v40, v28, v20
	s_waitcnt lgkmcnt(0)
	v_mul_f32_e32 v43, v19, v13
	v_fmac_f32_e32 v43, v18, v12
	v_mul_f32_e32 v12, v19, v12
	v_fma_f32 v44, v18, v13, -v12
	v_mul_f32_e32 v12, v28, v21
	v_fma_f32 v28, v29, v20, -v12
	v_mul_f32_e32 v29, v15, v23
	v_mul_f32_e32 v12, v14, v23
	v_fmac_f32_e32 v29, v14, v22
	v_fma_f32 v45, v15, v22, -v12
	ds_read2_b64 v[12:15], v7 offset0:32 offset1:64
	ds_read_b64 v[18:19], v1 offset:2816
	s_waitcnt vmcnt(2) lgkmcnt(1)
	v_mul_f32_e32 v20, v33, v13
	v_fmac_f32_e32 v20, v32, v12
	v_mul_f32_e32 v12, v33, v12
	v_fma_f32 v21, v32, v13, -v12
	ds_read_b64 v[12:13], v9
	s_waitcnt vmcnt(1)
	v_mul_f32_e32 v32, v15, v35
	v_fmac_f32_e32 v32, v14, v34
	v_mul_f32_e32 v14, v14, v35
	v_fma_f32 v33, v15, v34, -v14
	s_waitcnt lgkmcnt(0)
	v_sub_f32_e32 v14, v12, v25
	v_sub_f32_e32 v25, v41, v20
	v_fma_f32 v12, v12, 2.0, -v14
	v_fma_f32 v20, v41, 2.0, -v25
	v_sub_f32_e32 v15, v13, v30
	v_sub_f32_e32 v26, v24, v21
	;; [unrolled: 1-line block ×3, first 2 shown]
	v_fma_f32 v13, v13, 2.0, -v15
	v_fma_f32 v21, v24, 2.0, -v26
	;; [unrolled: 1-line block ×3, first 2 shown]
	v_mov_b32_e32 v12, 0x60
	v_sub_f32_e32 v21, v13, v21
	v_add_f32_e32 v24, v14, v26
	v_sub_f32_e32 v25, v15, v25
	v_cndmask_b32_e64 v12, 0, v12, s[0:1]
	v_fma_f32 v23, v13, 2.0, -v21
	v_fma_f32 v26, v14, 2.0, -v24
	;; [unrolled: 1-line block ×3, first 2 shown]
	v_or_b32_e32 v30, v12, v36
	ds_read2_b64 v[12:15], v11 offset0:32 offset1:64
	v_lshlrev_b32_e32 v30, 3, v30
	v_add3_u32 v30, 0, v30, v10
	s_waitcnt vmcnt(0) lgkmcnt(0)
	s_barrier
	ds_write2_b64 v30, v[22:23], v[26:27] offset1:24
	ds_write2_b64 v30, v[20:21], v[24:25] offset0:48 offset1:72
	v_sub_f32_e32 v20, v12, v43
	v_sub_f32_e32 v21, v13, v44
	v_fma_f32 v24, v12, 2.0, -v20
	v_fma_f32 v25, v13, 2.0, -v21
	v_mul_f32_e32 v22, v19, v17
	v_mul_f32_e32 v17, v18, v17
	v_fmac_f32_e32 v22, v18, v16
	v_fma_f32 v23, v19, v16, -v17
	v_sub_f32_e32 v19, v31, v32
	v_sub_f32_e32 v18, v42, v33
	v_fma_f32 v16, v31, 2.0, -v19
	v_fma_f32 v17, v42, 2.0, -v18
	v_sub_f32_e32 v12, v24, v16
	v_sub_f32_e32 v13, v25, v17
	v_add_f32_e32 v18, v20, v18
	v_sub_f32_e32 v19, v21, v19
	v_fma_f32 v16, v24, 2.0, -v12
	v_fma_f32 v17, v25, 2.0, -v13
	v_fma_f32 v20, v20, 2.0, -v18
	v_fma_f32 v21, v21, 2.0, -v19
	ds_write2_b64 v4, v[16:17], v[20:21] offset1:24
	v_sub_f32_e32 v24, v14, v29
	v_sub_f32_e32 v25, v15, v45
	v_sub_f32_e32 v21, v40, v22
	v_sub_f32_e32 v20, v28, v23
	ds_write2_b64 v4, v[12:13], v[18:19] offset0:48 offset1:72
	v_mul_u32_u24_e32 v4, 0x60, v38
	v_fma_f32 v16, v14, 2.0, -v24
	v_fma_f32 v17, v15, 2.0, -v25
	;; [unrolled: 1-line block ×4, first 2 shown]
	v_or_b32_sdwa v4, v4, v39 dst_sel:DWORD dst_unused:UNUSED_PAD src0_sel:DWORD src1_sel:BYTE_0
	v_sub_f32_e32 v14, v16, v14
	v_sub_f32_e32 v15, v17, v15
	v_add_f32_e32 v20, v24, v20
	v_sub_f32_e32 v21, v25, v21
	v_lshlrev_b32_e32 v4, 3, v4
	v_fma_f32 v16, v16, 2.0, -v14
	v_fma_f32 v17, v17, 2.0, -v15
	;; [unrolled: 1-line block ×4, first 2 shown]
	v_add3_u32 v4, 0, v4, v10
	ds_write2_b64 v4, v[16:17], v[22:23] offset1:24
	ds_write2_b64 v4, v[14:15], v[20:21] offset0:48 offset1:72
	v_mul_u32_u24_e32 v4, 3, v0
	v_lshlrev_b32_e32 v4, 3, v4
	s_waitcnt lgkmcnt(0)
	s_barrier
	global_load_dwordx4 v[12:15], v4, s[8:9] offset:720
	global_load_dwordx4 v[16:19], v4, s[8:9] offset:1488
	;; [unrolled: 1-line block ×3, first 2 shown]
	global_load_dwordx2 v[32:33], v4, s[8:9] offset:736
	global_load_dwordx2 v[34:35], v4, s[8:9] offset:1504
	;; [unrolled: 1-line block ×3, first 2 shown]
	ds_read2_b64 v[24:27], v1 offset0:96 offset1:128
	ds_read2_b64 v[28:31], v1 offset0:160 offset1:192
	s_waitcnt vmcnt(5) lgkmcnt(1)
	v_mul_f32_e32 v4, v13, v25
	v_mul_f32_e32 v10, v13, v24
	v_fmac_f32_e32 v4, v12, v24
	v_fma_f32 v24, v12, v25, -v10
	s_waitcnt lgkmcnt(0)
	v_mul_f32_e32 v25, v15, v31
	v_mul_f32_e32 v10, v15, v30
	v_fmac_f32_e32 v25, v14, v30
	v_fma_f32 v30, v14, v31, -v10
	ds_read2_b64 v[12:15], v6 offset0:96 offset1:128
	s_waitcnt vmcnt(4)
	v_mul_f32_e32 v31, v17, v27
	v_mul_f32_e32 v10, v17, v26
	v_fmac_f32_e32 v31, v16, v26
	v_fma_f32 v26, v16, v27, -v10
	s_waitcnt lgkmcnt(0)
	v_mul_f32_e32 v27, v19, v13
	v_mul_f32_e32 v10, v19, v12
	v_fmac_f32_e32 v27, v18, v12
	v_fma_f32 v38, v18, v13, -v10
	ds_read2_b64 v[16:19], v7 offset0:32 offset1:64
	s_waitcnt vmcnt(3)
	v_mul_f32_e32 v39, v29, v21
	v_mul_f32_e32 v10, v28, v21
	v_fmac_f32_e32 v39, v28, v20
	v_fma_f32 v28, v29, v20, -v10
	v_mul_f32_e32 v10, v14, v23
	v_fma_f32 v29, v15, v22, -v10
	s_waitcnt vmcnt(2) lgkmcnt(0)
	v_mul_f32_e32 v10, v33, v16
	v_fma_f32 v13, v32, v17, -v10
	ds_read_b64 v[9:10], v9
	v_mul_f32_e32 v7, v15, v23
	v_mul_f32_e32 v12, v33, v17
	v_fmac_f32_e32 v7, v14, v22
	v_fmac_f32_e32 v12, v32, v16
	ds_read_b64 v[16:17], v1 offset:2816
	s_waitcnt vmcnt(1)
	v_mul_f32_e32 v14, v18, v35
	v_fma_f32 v33, v19, v34, -v14
	s_waitcnt lgkmcnt(1)
	v_sub_f32_e32 v14, v9, v25
	v_sub_f32_e32 v15, v10, v30
	;; [unrolled: 1-line block ×4, first 2 shown]
	v_mul_f32_e32 v32, v19, v35
	v_add_f32_e32 v20, v14, v13
	v_sub_f32_e32 v21, v15, v12
	v_fmac_f32_e32 v32, v18, v34
	v_fma_f32 v18, v9, 2.0, -v14
	v_fma_f32 v19, v10, 2.0, -v15
	;; [unrolled: 1-line block ×6, first 2 shown]
	ds_read2_b64 v[12:15], v11 offset0:32 offset1:64
	v_sub_f32_e32 v9, v18, v4
	v_sub_f32_e32 v10, v19, v10
	v_fma_f32 v18, v18, 2.0, -v9
	v_fma_f32 v19, v19, 2.0, -v10
	s_waitcnt vmcnt(0) lgkmcnt(0)
	s_barrier
	ds_write2_b64 v1, v[18:19], v[22:23] offset1:96
	v_mul_f32_e32 v1, v17, v37
	v_mul_f32_e32 v4, v16, v37
	v_fmac_f32_e32 v1, v16, v36
	v_fma_f32 v4, v17, v36, -v4
	v_sub_f32_e32 v16, v12, v27
	v_sub_f32_e32 v17, v13, v38
	;; [unrolled: 1-line block ×8, first 2 shown]
	v_fma_f32 v12, v12, 2.0, -v16
	v_fma_f32 v13, v13, 2.0, -v17
	;; [unrolled: 1-line block ×6, first 2 shown]
	v_add_f32_e32 v22, v16, v22
	v_sub_f32_e32 v19, v17, v19
	v_fma_f32 v25, v39, 2.0, -v1
	v_fma_f32 v26, v28, 2.0, -v4
	v_sub_f32_e32 v23, v12, v23
	v_sub_f32_e32 v24, v13, v24
	v_fma_f32 v16, v16, 2.0, -v22
	v_fma_f32 v17, v17, 2.0, -v19
	v_sub_f32_e32 v25, v14, v25
	v_sub_f32_e32 v26, v15, v26
	v_add_f32_e32 v4, v7, v4
	v_sub_f32_e32 v1, v18, v1
	ds_write2_b64 v6, v[9:10], v[20:21] offset0:64 offset1:160
	v_add_u32_e32 v6, 0x400, v11
	v_add_u32_e32 v9, 0x800, v11
	v_fma_f32 v12, v12, 2.0, -v23
	v_fma_f32 v13, v13, 2.0, -v24
	v_fma_f32 v14, v14, 2.0, -v25
	v_fma_f32 v15, v15, 2.0, -v26
	v_fma_f32 v7, v7, 2.0, -v4
	v_fma_f32 v18, v18, 2.0, -v1
	ds_write2_b32 v6, v16, v17 offset1:1
	ds_write2_b32 v6, v23, v24 offset0:192 offset1:193
	ds_write2_b32 v9, v22, v19 offset0:128 offset1:129
	ds_write2_b64 v11, v[12:13], v[14:15] offset0:32 offset1:64
	ds_write2_b32 v6, v7, v18 offset0:64 offset1:65
	ds_write2_b32 v9, v25, v26 offset1:1
	ds_write2_b32 v9, v4, v1 offset0:192 offset1:193
	s_waitcnt lgkmcnt(0)
	s_barrier
	s_and_saveexec_b64 s[0:1], vcc
	s_cbranch_execz .LBB0_19
; %bb.18:
	v_lshl_add_u32 v10, v0, 3, v8
	v_mov_b32_e32 v1, v5
	ds_read2_b64 v[6:9], v10 offset1:32
	v_mov_b32_e32 v4, s3
	v_add_co_u32_e32 v11, vcc, s2, v2
	v_lshlrev_b64 v[1:2], 3, v[0:1]
	v_addc_co_u32_e32 v3, vcc, v4, v3, vcc
	v_add_co_u32_e32 v1, vcc, v11, v1
	v_addc_co_u32_e32 v2, vcc, v3, v2, vcc
	v_add_u32_e32 v4, 32, v0
	s_waitcnt lgkmcnt(0)
	global_store_dwordx2 v[1:2], v[6:7], off
	v_lshlrev_b64 v[1:2], 3, v[4:5]
	v_add_u32_e32 v4, 64, v0
	v_add_co_u32_e32 v1, vcc, v11, v1
	v_addc_co_u32_e32 v2, vcc, v3, v2, vcc
	global_store_dwordx2 v[1:2], v[8:9], off
	ds_read2_b64 v[6:9], v10 offset0:64 offset1:96
	v_lshlrev_b64 v[1:2], 3, v[4:5]
	v_add_u32_e32 v4, 0x60, v0
	v_add_co_u32_e32 v1, vcc, v11, v1
	v_addc_co_u32_e32 v2, vcc, v3, v2, vcc
	s_waitcnt lgkmcnt(0)
	global_store_dwordx2 v[1:2], v[6:7], off
	v_lshlrev_b64 v[1:2], 3, v[4:5]
	v_add_u32_e32 v4, 0x80, v0
	v_add_co_u32_e32 v1, vcc, v11, v1
	v_addc_co_u32_e32 v2, vcc, v3, v2, vcc
	global_store_dwordx2 v[1:2], v[8:9], off
	ds_read2_b64 v[6:9], v10 offset0:128 offset1:160
	v_lshlrev_b64 v[1:2], 3, v[4:5]
	v_add_u32_e32 v4, 0xa0, v0
	v_add_co_u32_e32 v1, vcc, v11, v1
	v_addc_co_u32_e32 v2, vcc, v3, v2, vcc
	;; [unrolled: 12-line block ×3, first 2 shown]
	s_waitcnt lgkmcnt(0)
	global_store_dwordx2 v[1:2], v[6:7], off
	v_lshlrev_b64 v[1:2], 3, v[4:5]
	v_add_u32_e32 v10, 0x800, v10
	v_add_co_u32_e32 v1, vcc, v11, v1
	v_addc_co_u32_e32 v2, vcc, v3, v2, vcc
	global_store_dwordx2 v[1:2], v[8:9], off
	v_add_u32_e32 v4, 0x100, v0
	ds_read2_b64 v[6:9], v10 offset1:32
	v_lshlrev_b64 v[1:2], 3, v[4:5]
	v_add_u32_e32 v4, 0x120, v0
	v_add_co_u32_e32 v1, vcc, v11, v1
	v_addc_co_u32_e32 v2, vcc, v3, v2, vcc
	s_waitcnt lgkmcnt(0)
	global_store_dwordx2 v[1:2], v[6:7], off
	v_lshlrev_b64 v[1:2], 3, v[4:5]
	v_add_u32_e32 v4, 0x140, v0
	v_add_co_u32_e32 v1, vcc, v11, v1
	v_addc_co_u32_e32 v2, vcc, v3, v2, vcc
	global_store_dwordx2 v[1:2], v[8:9], off
	ds_read2_b64 v[6:9], v10 offset0:64 offset1:96
	v_lshlrev_b64 v[1:2], 3, v[4:5]
	v_add_u32_e32 v4, 0x160, v0
	v_add_co_u32_e32 v1, vcc, v11, v1
	v_addc_co_u32_e32 v2, vcc, v3, v2, vcc
	s_waitcnt lgkmcnt(0)
	global_store_dwordx2 v[1:2], v[6:7], off
	v_lshlrev_b64 v[0:1], 3, v[4:5]
	v_add_co_u32_e32 v0, vcc, v11, v0
	v_addc_co_u32_e32 v1, vcc, v3, v1, vcc
	global_store_dwordx2 v[0:1], v[8:9], off
.LBB0_19:
	s_endpgm
	.section	.rodata,"a",@progbits
	.p2align	6, 0x0
	.amdhsa_kernel fft_rtc_back_len384_factors_6_4_4_4_wgs_128_tpt_32_halfLds_sp_ip_CI_unitstride_sbrr_C2R_dirReg
		.amdhsa_group_segment_fixed_size 0
		.amdhsa_private_segment_fixed_size 0
		.amdhsa_kernarg_size 88
		.amdhsa_user_sgpr_count 6
		.amdhsa_user_sgpr_private_segment_buffer 1
		.amdhsa_user_sgpr_dispatch_ptr 0
		.amdhsa_user_sgpr_queue_ptr 0
		.amdhsa_user_sgpr_kernarg_segment_ptr 1
		.amdhsa_user_sgpr_dispatch_id 0
		.amdhsa_user_sgpr_flat_scratch_init 0
		.amdhsa_user_sgpr_private_segment_size 0
		.amdhsa_uses_dynamic_stack 0
		.amdhsa_system_sgpr_private_segment_wavefront_offset 0
		.amdhsa_system_sgpr_workgroup_id_x 1
		.amdhsa_system_sgpr_workgroup_id_y 0
		.amdhsa_system_sgpr_workgroup_id_z 0
		.amdhsa_system_sgpr_workgroup_info 0
		.amdhsa_system_vgpr_workitem_id 0
		.amdhsa_next_free_vgpr 49
		.amdhsa_next_free_sgpr 22
		.amdhsa_reserve_vcc 1
		.amdhsa_reserve_flat_scratch 0
		.amdhsa_float_round_mode_32 0
		.amdhsa_float_round_mode_16_64 0
		.amdhsa_float_denorm_mode_32 3
		.amdhsa_float_denorm_mode_16_64 3
		.amdhsa_dx10_clamp 1
		.amdhsa_ieee_mode 1
		.amdhsa_fp16_overflow 0
		.amdhsa_exception_fp_ieee_invalid_op 0
		.amdhsa_exception_fp_denorm_src 0
		.amdhsa_exception_fp_ieee_div_zero 0
		.amdhsa_exception_fp_ieee_overflow 0
		.amdhsa_exception_fp_ieee_underflow 0
		.amdhsa_exception_fp_ieee_inexact 0
		.amdhsa_exception_int_div_zero 0
	.end_amdhsa_kernel
	.text
.Lfunc_end0:
	.size	fft_rtc_back_len384_factors_6_4_4_4_wgs_128_tpt_32_halfLds_sp_ip_CI_unitstride_sbrr_C2R_dirReg, .Lfunc_end0-fft_rtc_back_len384_factors_6_4_4_4_wgs_128_tpt_32_halfLds_sp_ip_CI_unitstride_sbrr_C2R_dirReg
                                        ; -- End function
	.section	.AMDGPU.csdata,"",@progbits
; Kernel info:
; codeLenInByte = 5888
; NumSgprs: 26
; NumVgprs: 49
; ScratchSize: 0
; MemoryBound: 0
; FloatMode: 240
; IeeeMode: 1
; LDSByteSize: 0 bytes/workgroup (compile time only)
; SGPRBlocks: 3
; VGPRBlocks: 12
; NumSGPRsForWavesPerEU: 26
; NumVGPRsForWavesPerEU: 49
; Occupancy: 4
; WaveLimiterHint : 1
; COMPUTE_PGM_RSRC2:SCRATCH_EN: 0
; COMPUTE_PGM_RSRC2:USER_SGPR: 6
; COMPUTE_PGM_RSRC2:TRAP_HANDLER: 0
; COMPUTE_PGM_RSRC2:TGID_X_EN: 1
; COMPUTE_PGM_RSRC2:TGID_Y_EN: 0
; COMPUTE_PGM_RSRC2:TGID_Z_EN: 0
; COMPUTE_PGM_RSRC2:TIDIG_COMP_CNT: 0
	.type	__hip_cuid_4d83b4aa92ab575d,@object ; @__hip_cuid_4d83b4aa92ab575d
	.section	.bss,"aw",@nobits
	.globl	__hip_cuid_4d83b4aa92ab575d
__hip_cuid_4d83b4aa92ab575d:
	.byte	0                               ; 0x0
	.size	__hip_cuid_4d83b4aa92ab575d, 1

	.ident	"AMD clang version 19.0.0git (https://github.com/RadeonOpenCompute/llvm-project roc-6.4.0 25133 c7fe45cf4b819c5991fe208aaa96edf142730f1d)"
	.section	".note.GNU-stack","",@progbits
	.addrsig
	.addrsig_sym __hip_cuid_4d83b4aa92ab575d
	.amdgpu_metadata
---
amdhsa.kernels:
  - .args:
      - .actual_access:  read_only
        .address_space:  global
        .offset:         0
        .size:           8
        .value_kind:     global_buffer
      - .offset:         8
        .size:           8
        .value_kind:     by_value
      - .actual_access:  read_only
        .address_space:  global
        .offset:         16
        .size:           8
        .value_kind:     global_buffer
      - .actual_access:  read_only
        .address_space:  global
        .offset:         24
        .size:           8
        .value_kind:     global_buffer
      - .offset:         32
        .size:           8
        .value_kind:     by_value
      - .actual_access:  read_only
        .address_space:  global
        .offset:         40
        .size:           8
        .value_kind:     global_buffer
      - .actual_access:  read_only
        .address_space:  global
        .offset:         48
        .size:           8
        .value_kind:     global_buffer
      - .offset:         56
        .size:           4
        .value_kind:     by_value
      - .actual_access:  read_only
        .address_space:  global
        .offset:         64
        .size:           8
        .value_kind:     global_buffer
      - .actual_access:  read_only
        .address_space:  global
        .offset:         72
        .size:           8
        .value_kind:     global_buffer
      - .address_space:  global
        .offset:         80
        .size:           8
        .value_kind:     global_buffer
    .group_segment_fixed_size: 0
    .kernarg_segment_align: 8
    .kernarg_segment_size: 88
    .language:       OpenCL C
    .language_version:
      - 2
      - 0
    .max_flat_workgroup_size: 128
    .name:           fft_rtc_back_len384_factors_6_4_4_4_wgs_128_tpt_32_halfLds_sp_ip_CI_unitstride_sbrr_C2R_dirReg
    .private_segment_fixed_size: 0
    .sgpr_count:     26
    .sgpr_spill_count: 0
    .symbol:         fft_rtc_back_len384_factors_6_4_4_4_wgs_128_tpt_32_halfLds_sp_ip_CI_unitstride_sbrr_C2R_dirReg.kd
    .uniform_work_group_size: 1
    .uses_dynamic_stack: false
    .vgpr_count:     49
    .vgpr_spill_count: 0
    .wavefront_size: 64
amdhsa.target:   amdgcn-amd-amdhsa--gfx906
amdhsa.version:
  - 1
  - 2
...

	.end_amdgpu_metadata
